;; amdgpu-corpus repo=ROCm/rocFFT kind=compiled arch=gfx1201 opt=O3
	.text
	.amdgcn_target "amdgcn-amd-amdhsa--gfx1201"
	.amdhsa_code_object_version 6
	.protected	fft_rtc_fwd_len52_factors_4_13_wgs_117_tpt_13_halfLds_dim1_sp_op_CI_CI_unitstride_sbrr_R2C_dirReg ; -- Begin function fft_rtc_fwd_len52_factors_4_13_wgs_117_tpt_13_halfLds_dim1_sp_op_CI_CI_unitstride_sbrr_R2C_dirReg
	.globl	fft_rtc_fwd_len52_factors_4_13_wgs_117_tpt_13_halfLds_dim1_sp_op_CI_CI_unitstride_sbrr_R2C_dirReg
	.p2align	8
	.type	fft_rtc_fwd_len52_factors_4_13_wgs_117_tpt_13_halfLds_dim1_sp_op_CI_CI_unitstride_sbrr_R2C_dirReg,@function
fft_rtc_fwd_len52_factors_4_13_wgs_117_tpt_13_halfLds_dim1_sp_op_CI_CI_unitstride_sbrr_R2C_dirReg: ; @fft_rtc_fwd_len52_factors_4_13_wgs_117_tpt_13_halfLds_dim1_sp_op_CI_CI_unitstride_sbrr_R2C_dirReg
; %bb.0:
	v_mul_u32_u24_e32 v1, 0x13b2, v0
	s_load_b64 s[2:3], s[0:1], 0x20
                                        ; implicit-def: $vgpr21
                                        ; implicit-def: $vgpr20
	s_delay_alu instid0(VALU_DEP_1) | instskip(NEXT) | instid1(VALU_DEP_1)
	v_lshrrev_b32_e32 v1, 16, v1
	v_mad_co_u64_u32 v[22:23], null, ttmp9, 9, v[1:2]
	v_mov_b32_e32 v23, 0
	s_delay_alu instid0(VALU_DEP_2) | instskip(SKIP_1) | instid1(VALU_DEP_2)
	v_mul_hi_u32 v2, 0x38e38e39, v22
	s_wait_kmcnt 0x0
	v_cmp_gt_u64_e32 vcc_lo, s[2:3], v[22:23]
	v_cmp_le_u64_e64 s2, s[2:3], v[22:23]
	s_delay_alu instid0(VALU_DEP_3) | instskip(NEXT) | instid1(VALU_DEP_1)
	v_lshrrev_b32_e32 v2, 1, v2
	v_lshl_add_u32 v2, v2, 3, v2
	s_delay_alu instid0(VALU_DEP_1) | instskip(NEXT) | instid1(VALU_DEP_4)
	v_sub_nc_u32_e32 v2, v22, v2
	s_and_saveexec_b32 s3, s2
	s_wait_alu 0xfffe
	s_xor_b32 s2, exec_lo, s3
; %bb.1:
	v_and_b32_e32 v1, 0xffff, v0
	s_delay_alu instid0(VALU_DEP_1) | instskip(NEXT) | instid1(VALU_DEP_1)
	v_mul_u32_u24_e32 v1, 0x13b2, v1
	v_lshrrev_b32_e32 v1, 16, v1
	s_delay_alu instid0(VALU_DEP_1) | instskip(NEXT) | instid1(VALU_DEP_1)
	v_mul_lo_u16 v1, v1, 13
	v_sub_nc_u16 v21, v0, v1
                                        ; implicit-def: $vgpr1
                                        ; implicit-def: $vgpr0
	s_delay_alu instid0(VALU_DEP_1)
	v_and_b32_e32 v20, 0xffff, v21
; %bb.2:
	s_wait_alu 0xfffe
	s_or_saveexec_b32 s3, s2
	s_load_b64 s[4:5], s[0:1], 0x18
	v_mul_u32_u24_e32 v2, 53, v2
                                        ; implicit-def: $vgpr23
	s_delay_alu instid0(VALU_DEP_1)
	v_lshlrev_b32_e32 v2, 3, v2
	s_xor_b32 exec_lo, exec_lo, s3
	s_cbranch_execz .LBB0_4
; %bb.3:
	s_clause 0x1
	s_load_b64 s[6:7], s[0:1], 0x10
	s_load_b64 s[8:9], s[0:1], 0x50
	v_mul_lo_u16 v1, v1, 13
	s_delay_alu instid0(VALU_DEP_1) | instskip(NEXT) | instid1(VALU_DEP_1)
	v_sub_nc_u16 v21, v0, v1
	v_and_b32_e32 v20, 0xffff, v21
	s_delay_alu instid0(VALU_DEP_1)
	v_lshlrev_b32_e32 v9, 3, v20
	v_mov_b32_e32 v23, v20
	s_wait_kmcnt 0x0
	s_load_b64 s[6:7], s[6:7], 0x8
	s_wait_kmcnt 0x0
	v_mad_co_u64_u32 v[3:4], null, s6, v22, 0
	s_delay_alu instid0(VALU_DEP_1) | instskip(NEXT) | instid1(VALU_DEP_1)
	v_mad_co_u64_u32 v[4:5], null, s7, v22, v[4:5]
	v_lshlrev_b64_e32 v[0:1], 3, v[3:4]
	s_delay_alu instid0(VALU_DEP_1) | instskip(SKIP_1) | instid1(VALU_DEP_2)
	v_add_co_u32 v0, s2, s8, v0
	s_wait_alu 0xf1ff
	v_add_co_ci_u32_e64 v1, s2, s9, v1, s2
	s_delay_alu instid0(VALU_DEP_2) | instskip(SKIP_1) | instid1(VALU_DEP_2)
	v_add_co_u32 v0, s2, v0, v9
	s_wait_alu 0xf1ff
	v_add_co_ci_u32_e64 v1, s2, 0, v1, s2
	v_add3_u32 v9, 0, v2, v9
	s_clause 0x3
	global_load_b64 v[3:4], v[0:1], off
	global_load_b64 v[5:6], v[0:1], off offset:104
	global_load_b64 v[7:8], v[0:1], off offset:208
	;; [unrolled: 1-line block ×3, first 2 shown]
	s_wait_loadcnt 0x2
	ds_store_2addr_b64 v9, v[3:4], v[5:6] offset1:13
	s_wait_loadcnt 0x0
	ds_store_2addr_b64 v9, v[7:8], v[0:1] offset0:26 offset1:39
.LBB0_4:
	s_or_b32 exec_lo, exec_lo, s3
	v_lshlrev_b32_e32 v32, 3, v20
	v_add_nc_u32_e32 v30, 0, v2
	s_wait_kmcnt 0x0
	s_load_b64 s[4:5], s[4:5], 0x8
	global_wb scope:SCOPE_SE
	s_wait_dscnt 0x0
	s_wait_kmcnt 0x0
	s_barrier_signal -1
	v_add3_u32 v33, 0, v32, v2
	v_add_nc_u32_e32 v31, v30, v32
	s_barrier_wait -1
	global_inv scope:SCOPE_SE
	s_load_b64 s[6:7], s[0:1], 0x0
	ds_load_2addr_b64 v[0:3], v33 offset0:13 offset1:26
	ds_load_b64 v[4:5], v31
	ds_load_b64 v[6:7], v33 offset:312
	v_cmp_gt_u16_e64 s2, 4, v21
	global_wb scope:SCOPE_SE
	s_wait_dscnt 0x0
	s_wait_kmcnt 0x0
	s_barrier_signal -1
	s_barrier_wait -1
	global_inv scope:SCOPE_SE
                                        ; implicit-def: $vgpr19
                                        ; implicit-def: $vgpr15
                                        ; implicit-def: $vgpr11
	v_dual_sub_f32 v2, v4, v2 :: v_dual_sub_f32 v3, v5, v3
	v_sub_f32_e32 v7, v1, v7
	s_delay_alu instid0(VALU_DEP_2) | instskip(NEXT) | instid1(VALU_DEP_3)
	v_fma_f32 v4, v4, 2.0, -v2
	v_fma_f32 v5, v5, 2.0, -v3
	s_delay_alu instid0(VALU_DEP_3) | instskip(NEXT) | instid1(VALU_DEP_1)
	v_fma_f32 v1, v1, 2.0, -v7
	v_dual_sub_f32 v6, v0, v6 :: v_dual_sub_f32 v27, v5, v1
	s_delay_alu instid0(VALU_DEP_1) | instskip(SKIP_1) | instid1(VALU_DEP_3)
	v_fma_f32 v0, v0, 2.0, -v6
	v_dual_sub_f32 v8, v2, v7 :: v_dual_add_f32 v9, v3, v6
                                        ; implicit-def: $vgpr7
	v_fma_f32 v25, v5, 2.0, -v27
	s_delay_alu instid0(VALU_DEP_3) | instskip(SKIP_1) | instid1(VALU_DEP_4)
	v_sub_f32_e32 v26, v4, v0
	v_mad_u32_u24 v0, v20, 24, v33
	v_fma_f32 v28, v2, 2.0, -v8
	v_fma_f32 v29, v3, 2.0, -v9
                                        ; implicit-def: $vgpr3
	s_delay_alu instid0(VALU_DEP_4)
	v_fma_f32 v24, v4, 2.0, -v26
	ds_store_2addr_b64 v0, v[24:25], v[28:29] offset1:1
	ds_store_2addr_b64 v0, v[26:27], v[8:9] offset0:2 offset1:3
	global_wb scope:SCOPE_SE
	s_wait_dscnt 0x0
	s_barrier_signal -1
	s_barrier_wait -1
	global_inv scope:SCOPE_SE
	s_and_saveexec_b32 s3, s2
	s_cbranch_execz .LBB0_6
; %bb.5:
	ds_load_2addr_b64 v[8:11], v33 offset0:12 offset1:16
	ds_load_2addr_b64 v[34:37], v33 offset0:4 offset1:8
	ds_load_b64 v[24:25], v31
	ds_load_2addr_b64 v[0:3], v33 offset0:20 offset1:24
	ds_load_2addr_b64 v[4:7], v33 offset0:28 offset1:32
	;; [unrolled: 1-line block ×4, first 2 shown]
	s_wait_dscnt 0x5
	v_dual_mov_b32 v27, v37 :: v_dual_mov_b32 v26, v36
	v_dual_mov_b32 v29, v35 :: v_dual_mov_b32 v28, v34
.LBB0_6:
	s_wait_alu 0xfffe
	s_or_b32 exec_lo, exec_lo, s3
	global_wb scope:SCOPE_SE
	s_wait_dscnt 0x0
	s_barrier_signal -1
	s_barrier_wait -1
	global_inv scope:SCOPE_SE
	s_and_saveexec_b32 s3, s2
	s_cbranch_execz .LBB0_8
; %bb.7:
	v_and_b32_e32 v34, 3, v20
	s_delay_alu instid0(VALU_DEP_1) | instskip(NEXT) | instid1(VALU_DEP_1)
	v_mul_u32_u24_e32 v34, 12, v34
	v_lshlrev_b32_e32 v34, 3, v34
	s_clause 0x5
	global_load_b128 v[44:47], v34, s[6:7]
	global_load_b128 v[48:51], v34, s[6:7] offset:80
	global_load_b128 v[53:56], v34, s[6:7] offset:16
	;; [unrolled: 1-line block ×5, first 2 shown]
	s_wait_loadcnt 0x4
	v_dual_mul_f32 v52, v29, v45 :: v_dual_mul_f32 v69, v19, v51
	v_dual_mul_f32 v34, v18, v51 :: v_dual_mul_f32 v35, v16, v49
	;; [unrolled: 1-line block ×3, first 2 shown]
	s_wait_loadcnt 0x2
	v_dual_mul_f32 v49, v15, v60 :: v_dual_mul_f32 v72, v26, v47
	v_mul_f32_e32 v47, v9, v54
	v_dual_mul_f32 v45, v28, v45 :: v_dual_mul_f32 v36, v14, v60
	v_mul_f32_e32 v37, v12, v58
	v_dual_mul_f32 v42, v8, v54 :: v_dual_mul_f32 v43, v10, v56
	s_wait_loadcnt 0x1
	v_dual_mul_f32 v54, v11, v56 :: v_dual_mul_f32 v41, v0, v62
	v_mul_f32_e32 v60, v13, v58
	s_wait_loadcnt 0x0
	v_dual_mul_f32 v58, v7, v68 :: v_dual_mul_f32 v39, v4, v66
	v_dual_mul_f32 v38, v6, v68 :: v_dual_fmac_f32 v37, v13, v57
	v_fma_f32 v28, v28, v44, -v52
	v_fma_f32 v18, v18, v50, -v69
	v_fma_f32 v52, v8, v53, -v47
	v_fma_f32 v14, v14, v59, -v49
	v_dual_mul_f32 v40, v2, v64 :: v_dual_fmac_f32 v39, v5, v65
	v_dual_fmac_f32 v34, v19, v50 :: v_dual_fmac_f32 v45, v29, v44
	v_fma_f32 v74, v26, v46, -v51
	v_fma_f32 v16, v16, v48, -v70
	v_mul_f32_e32 v68, v5, v66
	v_dual_fmac_f32 v35, v17, v48 :: v_dual_fmac_f32 v72, v27, v46
	v_fmac_f32_e32 v36, v15, v59
	v_fmac_f32_e32 v42, v9, v53
	v_fma_f32 v51, v10, v55, -v54
	v_fmac_f32_e32 v43, v11, v55
	v_fma_f32 v13, v6, v67, -v58
	v_dual_fmac_f32 v38, v7, v67 :: v_dual_add_f32 v11, v45, v34
	v_fmac_f32_e32 v41, v1, v61
	v_sub_f32_e32 v55, v28, v18
	v_sub_f32_e32 v67, v52, v14
	v_mul_f32_e32 v56, v1, v62
	v_mul_f32_e32 v62, v3, v64
	v_fma_f32 v12, v12, v57, -v60
	v_dual_fmac_f32 v40, v3, v63 :: v_dual_add_f32 v1, v41, v38
	v_sub_f32_e32 v57, v45, v34
	s_delay_alu instid0(VALU_DEP_4)
	v_fma_f32 v17, v2, v63, -v62
	v_dual_add_f32 v2, v43, v37 :: v_dual_sub_f32 v63, v41, v38
	v_add_f32_e32 v9, v74, v16
	v_fma_f32 v15, v4, v65, -v68
	v_add_f32_e32 v4, v72, v35
	v_dual_add_f32 v54, v24, v28 :: v_dual_mul_f32 v89, 0xbf29c268, v67
	v_add_f32_e32 v3, v42, v36
	v_fma_f32 v27, v0, v61, -v56
	v_dual_sub_f32 v56, v74, v16 :: v_dual_sub_f32 v59, v17, v15
	v_dual_sub_f32 v64, v51, v12 :: v_dual_sub_f32 v87, v72, v35
	v_dual_add_f32 v10, v28, v18 :: v_dual_sub_f32 v65, v43, v37
	v_dual_add_f32 v8, v52, v14 :: v_dual_add_f32 v53, v25, v45
	v_dual_sub_f32 v70, v42, v36 :: v_dual_sub_f32 v61, v40, v39
	v_dual_mul_f32 v98, 0xbe750f2a, v57 :: v_dual_mul_f32 v111, 0xbe750f2a, v56
	v_dual_mul_f32 v66, 0xbf6f5d39, v63 :: v_dual_add_f32 v113, v54, v74
	v_mul_f32_e32 v102, 0xbf6f5d39, v57
	v_dual_sub_f32 v60, v27, v13 :: v_dual_add_f32 v5, v17, v15
	v_dual_add_f32 v0, v40, v39 :: v_dual_add_f32 v7, v51, v12
	v_dual_mul_f32 v86, 0x3f52af12, v64 :: v_dual_mul_f32 v69, 0x3f52af12, v65
	v_dual_mul_f32 v75, 0x3f7e222b, v59 :: v_dual_mul_f32 v28, 0x3f7e222b, v61
	;; [unrolled: 1-line block ×5, first 2 shown]
	v_dual_mul_f32 v93, 0x3eedf032, v67 :: v_dual_add_f32 v112, v53, v72
	v_dual_mul_f32 v77, 0x3eedf032, v70 :: v_dual_add_f32 v52, v113, v52
	v_mul_f32_e32 v106, 0xbf29c268, v57
	v_dual_mul_f32 v91, 0xbf7e222b, v64 :: v_dual_mul_f32 v110, 0xbf7e222b, v55
	s_delay_alu instid0(VALU_DEP_4) | instskip(SKIP_4) | instid1(VALU_DEP_4)
	v_dual_mul_f32 v79, 0xbf7e222b, v57 :: v_dual_add_f32 v42, v112, v42
	v_fma_f32 v120, 0xbf788fa5, v10, -v98
	v_fma_f32 v142, 0xbeb58ec6, v10, -v102
	v_dual_mul_f32 v103, 0x3f7e222b, v56 :: v_dual_mul_f32 v100, 0x3f7e222b, v87
	v_dual_mul_f32 v85, 0x3eedf032, v60 :: v_dual_mul_f32 v116, 0x3eedf032, v59
	v_dual_mul_f32 v95, 0x3f6f5d39, v67 :: v_dual_add_f32 v120, v24, v120
	v_mul_f32_e32 v58, 0xbeedf032, v55
	v_dual_fmamk_f32 v119, v2, 0x3f116cb1, v86 :: v_dual_add_f32 v142, v24, v142
	v_fma_f32 v121, 0x3f62ad3f, v9, -v97
	v_fmamk_f32 v122, v11, 0xbf3f9e67, v108
	v_dual_fmamk_f32 v130, v0, 0x3df6dbef, v75 :: v_dual_fmamk_f32 v113, v11, 0x3df6dbef, v110
	v_mul_f32_e32 v114, 0xbf52af12, v55
	v_fma_f32 v143, 0xbf3f9e67, v9, -v99
	v_add_f32_e32 v51, v52, v51
	v_fma_f32 v124, 0xbf3f9e67, v10, -v106
	v_add_f32_e32 v113, v25, v113
	v_fma_f32 v52, 0x3df6dbef, v10, -v79
	v_dual_add_f32 v6, v27, v13 :: v_dual_mul_f32 v107, 0xbe750f2a, v55
	v_dual_mul_f32 v105, 0x3eedf032, v56 :: v_dual_mul_f32 v68, 0x3eedf032, v63
	v_dual_mul_f32 v80, 0xbf6f5d39, v60 :: v_dual_mul_f32 v109, 0xbf6f5d39, v55
	v_mul_f32_e32 v92, 0xbf52af12, v67
	v_dual_mul_f32 v88, 0x3e750f2a, v64 :: v_dual_mul_f32 v71, 0x3e750f2a, v65
	v_mul_f32_e32 v76, 0xbf6f5d39, v59
	v_dual_mul_f32 v78, 0xbf52af12, v70 :: v_dual_mul_f32 v29, 0xbf52af12, v63
	v_dual_mul_f32 v44, 0xbf6f5d39, v61 :: v_dual_mul_f32 v53, 0xbf6f5d39, v87
	;; [unrolled: 1-line block ×4, first 2 shown]
	v_dual_mul_f32 v47, 0x3f6f5d39, v70 :: v_dual_add_f32 v42, v42, v43
	v_dual_mul_f32 v45, 0x3eedf032, v65 :: v_dual_add_f32 v122, v25, v122
	v_dual_mul_f32 v50, 0xbf52af12, v60 :: v_dual_mul_f32 v55, 0xbf52af12, v87
	v_mul_f32_e32 v90, 0xbe750f2a, v67
	v_dual_mul_f32 v67, 0xbf7e222b, v70 :: v_dual_add_f32 v124, v24, v124
	v_dual_mul_f32 v101, 0x3f29c268, v64 :: v_dual_mul_f32 v70, 0x3f29c268, v65
	v_dual_mul_f32 v87, 0xbf6f5d39, v64 :: v_dual_mul_f32 v64, 0xbf6f5d39, v65
	v_add_f32_e32 v27, v51, v27
	v_dual_mul_f32 v65, 0x3f7e222b, v63 :: v_dual_add_f32 v120, v121, v120
	v_dual_fmamk_f32 v118, v3, 0xbf3f9e67, v89 :: v_dual_fmamk_f32 v141, v4, 0xbf3f9e67, v104
	v_fmamk_f32 v123, v4, 0x3df6dbef, v103
	v_fma_f32 v125, 0x3df6dbef, v9, -v100
	v_fmamk_f32 v136, v1, 0x3f62ad3f, v85
	v_dual_fmamk_f32 v43, v4, 0xbf788fa5, v111 :: v_dual_add_f32 v142, v143, v142
	v_dual_fmamk_f32 v121, v11, 0x3f116cb1, v114 :: v_dual_add_f32 v52, v24, v52
	v_mul_f32_e32 v62, 0xbf6f5d39, v56
	s_delay_alu instid0(VALU_DEP_3)
	v_dual_mul_f32 v56, 0xbf52af12, v56 :: v_dual_add_f32 v43, v43, v113
	v_fmamk_f32 v143, v11, 0x3f62ad3f, v58
	v_dual_mul_f32 v81, 0x3e750f2a, v60 :: v_dual_mul_f32 v48, 0x3e750f2a, v63
	v_dual_mul_f32 v46, 0xbf29c268, v59 :: v_dual_mul_f32 v19, 0xbf29c268, v61
	v_dual_mul_f32 v115, 0x3f7e222b, v60 :: v_dual_add_f32 v122, v123, v122
	v_mul_f32_e32 v94, 0xbf29c268, v60
	v_mul_f32_e32 v96, 0xbe750f2a, v59
	v_dual_fmamk_f32 v117, v4, 0x3f62ad3f, v105 :: v_dual_add_f32 v124, v125, v124
	v_mul_f32_e32 v82, 0x3f52af12, v59
	v_mul_f32_e32 v59, 0xbe750f2a, v61
	v_dual_add_f32 v121, v25, v121 :: v_dual_fmamk_f32 v140, v11, 0xbeb58ec6, v109
	v_fmamk_f32 v123, v4, 0xbeb58ec6, v62
	v_mul_f32_e32 v60, 0xbf29c268, v63
	v_mul_f32_e32 v63, 0x3eedf032, v61
	v_fmamk_f32 v113, v4, 0x3f116cb1, v56
	v_dual_add_f32 v143, v25, v143 :: v_dual_mul_f32 v26, 0x3f52af12, v61
	v_dual_fmamk_f32 v61, v11, 0xbf788fa5, v107 :: v_dual_fmamk_f32 v132, v2, 0xbf788fa5, v88
	v_fma_f32 v107, 0xbf788fa5, v11, -v107
	v_mul_f32_e32 v54, 0xbf52af12, v57
	v_fma_f32 v105, 0x3f62ad3f, v4, -v105
	s_delay_alu instid0(VALU_DEP_4) | instskip(SKIP_3) | instid1(VALU_DEP_4)
	v_add_f32_e32 v61, v25, v61
	v_fma_f32 v108, 0xbf3f9e67, v11, -v108
	v_add_f32_e32 v107, v25, v107
	v_mul_f32_e32 v57, 0xbeedf032, v57
	v_dual_fmamk_f32 v138, v0, 0xbeb58ec6, v76 :: v_dual_add_f32 v61, v117, v61
	v_fma_f32 v117, 0xbf788fa5, v9, -v49
	s_delay_alu instid0(VALU_DEP_4)
	v_add_f32_e32 v105, v105, v107
	v_add_f32_e32 v140, v25, v140
	v_fma_f32 v125, 0x3f116cb1, v10, -v54
	v_dual_fmamk_f32 v107, v0, 0x3f116cb1, v82 :: v_dual_add_f32 v108, v25, v108
	v_fma_f32 v103, 0x3df6dbef, v4, -v103
	v_fma_f32 v110, 0x3df6dbef, v11, -v110
	;; [unrolled: 1-line block ×3, first 2 shown]
	v_dual_fmamk_f32 v128, v3, 0x3f116cb1, v92 :: v_dual_add_f32 v41, v42, v41
	v_add_f32_e32 v140, v141, v140
	v_fma_f32 v141, 0xbeb58ec6, v9, -v53
	v_add_f32_e32 v52, v117, v52
	v_fma_f32 v117, 0x3f62ad3f, v10, -v57
	v_dual_add_f32 v125, v24, v125 :: v_dual_fmamk_f32 v42, v1, 0xbf788fa5, v81
	v_dual_add_f32 v103, v103, v108 :: v_dual_fmac_f32 v106, 0xbf3f9e67, v10
	v_fmac_f32_e32 v99, 0xbf3f9e67, v9
	v_dual_fmamk_f32 v108, v3, 0xbeb58ec6, v95 :: v_dual_add_f32 v61, v118, v61
	v_fmac_f32_e32 v102, 0xbeb58ec6, v10
	v_fma_f32 v111, 0xbf788fa5, v4, -v111
	v_dual_add_f32 v110, v25, v110 :: v_dual_add_f32 v121, v123, v121
	v_fma_f32 v123, 0x3f116cb1, v9, -v55
	v_add_f32_e32 v117, v24, v117
	v_add_f32_e32 v125, v141, v125
	v_fma_f32 v141, 0x3f62ad3f, v8, -v77
	v_dual_fmac_f32 v97, 0x3f62ad3f, v9 :: v_dual_add_f32 v106, v24, v106
	v_fma_f32 v109, 0xbeb58ec6, v11, -v109
	v_fmac_f32_e32 v98, 0xbf788fa5, v10
	s_delay_alu instid0(VALU_DEP_4)
	v_dual_add_f32 v120, v127, v120 :: v_dual_add_f32 v141, v141, v142
	v_dual_fmamk_f32 v127, v0, 0xbf3f9e67, v46 :: v_dual_add_f32 v110, v111, v110
	v_fmac_f32_e32 v83, 0xbf3f9e67, v8
	v_fmamk_f32 v111, v1, 0x3f116cb1, v50
	v_add_f32_e32 v43, v108, v43
	v_add_f32_e32 v102, v24, v102
	v_fmac_f32_e32 v100, 0x3df6dbef, v9
	v_dual_fmamk_f32 v126, v1, 0xbeb58ec6, v80 :: v_dual_add_f32 v117, v123, v117
	v_fma_f32 v129, 0x3f116cb1, v8, -v78
	v_add_f32_e32 v113, v113, v143
	v_fma_f32 v123, 0x3df6dbef, v7, -v73
	v_fma_f32 v104, 0xbf3f9e67, v4, -v104
	v_add_f32_e32 v109, v25, v109
	v_dual_fmamk_f32 v143, v2, 0x3df6dbef, v91 :: v_dual_add_f32 v98, v24, v98
	v_fmamk_f32 v112, v3, 0x3f62ad3f, v93
	v_add_f32_e32 v99, v99, v102
	v_add_f32_e32 v100, v100, v106
	v_fma_f32 v106, 0xbeb58ec6, v8, -v47
	v_dual_fmamk_f32 v142, v3, 0x3df6dbef, v74 :: v_dual_fmac_f32 v73, 0x3df6dbef, v7
	v_fmac_f32_e32 v78, 0x3f116cb1, v8
	v_fma_f32 v131, 0x3f116cb1, v7, -v69
	v_fma_f32 v133, 0xbf788fa5, v7, -v71
	s_delay_alu instid0(VALU_DEP_4)
	v_add_f32_e32 v113, v142, v113
	v_dual_add_f32 v97, v97, v98 :: v_dual_add_f32 v104, v104, v109
	v_dual_fmamk_f32 v109, v2, 0x3f62ad3f, v84 :: v_dual_add_f32 v122, v128, v122
	v_fmac_f32_e32 v77, 0x3f62ad3f, v8
	v_add_f32_e32 v112, v112, v140
	v_fma_f32 v140, 0xbf788fa5, v8, -v72
	v_dual_add_f32 v124, v129, v124 :: v_dual_fmamk_f32 v129, v3, 0xbf788fa5, v90
	v_fma_f32 v108, 0x3df6dbef, v8, -v67
	v_fma_f32 v93, 0x3f62ad3f, v3, -v93
	s_delay_alu instid0(VALU_DEP_4)
	v_dual_add_f32 v125, v140, v125 :: v_dual_add_f32 v52, v106, v52
	v_fmac_f32_e32 v69, 0x3f116cb1, v7
	v_dual_fmamk_f32 v106, v2, 0xbf3f9e67, v101 :: v_dual_add_f32 v17, v27, v17
	v_dual_fmac_f32 v71, 0xbf788fa5, v7 :: v_dual_add_f32 v108, v108, v117
	v_dual_fmamk_f32 v27, v1, 0xbf3f9e67, v94 :: v_dual_add_f32 v78, v78, v100
	v_fma_f32 v134, 0xbeb58ec6, v6, -v66
	v_fma_f32 v135, 0x3df6dbef, v5, -v28
	;; [unrolled: 1-line block ×9, first 2 shown]
	v_add_f32_e32 v121, v129, v121
	v_fma_f32 v129, 0xbf3f9e67, v7, -v70
	v_fma_f32 v91, 0x3df6dbef, v2, -v91
	v_dual_add_f32 v40, v41, v40 :: v_dual_add_f32 v83, v83, v97
	v_dual_fmac_f32 v66, 0xbeb58ec6, v6 :: v_dual_add_f32 v93, v93, v104
	v_dual_fmamk_f32 v97, v0, 0x3f62ad3f, v116 :: v_dual_add_f32 v112, v143, v112
	v_dual_fmac_f32 v28, 0x3df6dbef, v5 :: v_dual_fmac_f32 v79, 0x3df6dbef, v10
	v_fmac_f32_e32 v68, 0x3f62ad3f, v6
	v_dual_fmac_f32 v44, 0xbeb58ec6, v5 :: v_dual_add_f32 v77, v77, v99
	v_dual_fmac_f32 v48, 0xbf788fa5, v6 :: v_dual_add_f32 v61, v119, v61
	v_add_f32_e32 v99, v131, v120
	v_dual_add_f32 v119, v133, v124 :: v_dual_add_f32 v120, v123, v141
	v_add_f32_e32 v15, v17, v15
	v_dual_add_f32 v71, v71, v78 :: v_dual_add_f32 v42, v42, v112
	v_dual_fmamk_f32 v140, v2, 0xbeb58ec6, v87 :: v_dual_add_f32 v89, v89, v105
	v_fma_f32 v86, 0x3f116cb1, v2, -v86
	v_fma_f32 v88, 0xbf788fa5, v2, -v88
	v_dual_fmamk_f32 v117, v1, 0x3df6dbef, v115 :: v_dual_add_f32 v92, v92, v103
	v_fma_f32 v41, 0x3df6dbef, v6, -v65
	v_add_f32_e32 v79, v24, v79
	v_dual_add_f32 v95, v95, v110 :: v_dual_add_f32 v52, v102, v52
	v_dual_add_f32 v43, v109, v43 :: v_dual_add_f32 v102, v106, v121
	;; [unrolled: 1-line block ×3, first 2 shown]
	v_add_f32_e32 v78, v91, v93
	v_add_f32_e32 v61, v126, v61
	v_dual_add_f32 v51, v51, v120 :: v_dual_add_f32 v68, v68, v71
	v_add_f32_e32 v13, v15, v13
	v_fma_f32 v104, 0xbf788fa5, v5, -v59
	v_dual_add_f32 v110, v132, v122 :: v_dual_add_f32 v17, v86, v89
	v_dual_add_f32 v40, v69, v83 :: v_dual_add_f32 v69, v88, v92
	v_add_f32_e32 v86, v137, v119
	v_dual_add_f32 v73, v73, v77 :: v_dual_add_f32 v88, v111, v43
	v_dual_add_f32 v77, v134, v99 :: v_dual_add_f32 v92, v41, v106
	v_add_f32_e32 v99, v39, v38
	v_add_f32_e32 v39, v130, v61
	;; [unrolled: 1-line block ×3, first 2 shown]
	v_fma_f32 v98, 0x3f116cb1, v5, -v26
	v_fmac_f32_e32 v26, 0x3f116cb1, v5
	v_fma_f32 v142, 0xbeb58ec6, v7, -v64
	v_add_f32_e32 v109, v140, v113
	v_dual_add_f32 v61, v61, v14 :: v_dual_fmamk_f32 v100, v0, 0xbf788fa5, v96
	s_delay_alu instid0(VALU_DEP_3) | instskip(SKIP_1) | instid1(VALU_DEP_4)
	v_dual_fmac_f32 v49, 0xbf788fa5, v9 :: v_dual_add_f32 v108, v142, v108
	v_dual_add_f32 v83, v136, v110 :: v_dual_add_f32 v66, v66, v40
	v_add_f32_e32 v27, v27, v109
	s_delay_alu instid0(VALU_DEP_4)
	v_add_f32_e32 v61, v61, v16
	v_add_f32_e32 v16, v44, v68
	v_fma_f32 v44, 0xbeb58ec6, v4, -v62
	v_add_f32_e32 v37, v99, v37
	v_fma_f32 v105, 0xbf3f9e67, v6, -v60
	;; [unrolled: 2-line block ×3, first 2 shown]
	s_delay_alu instid0(VALU_DEP_4) | instskip(NEXT) | instid1(VALU_DEP_4)
	v_dual_fmac_f32 v54, 0x3f116cb1, v10 :: v_dual_add_f32 v27, v37, v36
	v_dual_add_f32 v93, v105, v108 :: v_dual_add_f32 v36, v28, v66
	v_fma_f32 v11, 0x3f62ad3f, v11, -v58
	v_add_f32_e32 v41, v138, v83
	s_delay_alu instid0(VALU_DEP_4)
	v_add_f32_e32 v28, v27, v35
	v_fma_f32 v4, 0x3f116cb1, v4, -v56
	v_fmac_f32_e32 v59, 0xbf788fa5, v5
	v_add_f32_e32 v11, v25, v11
	v_fmac_f32_e32 v55, 0x3f116cb1, v9
	v_add_f32_e32 v35, v28, v34
	v_add_f32_e32 v28, v25, v114
	v_fma_f32 v81, 0xbf788fa5, v1, -v81
	v_add_f32_e32 v91, v117, v102
	v_dual_fmac_f32 v47, 0xbeb58ec6, v8 :: v_dual_add_f32 v4, v4, v11
	s_delay_alu instid0(VALU_DEP_4)
	v_add_f32_e32 v28, v44, v28
	v_fma_f32 v44, 0xbf788fa5, v3, -v90
	v_fma_f32 v3, 0x3df6dbef, v3, -v74
	;; [unrolled: 1-line block ×5, first 2 shown]
	v_add_f32_e32 v71, v81, v78
	v_dual_add_f32 v43, v107, v42 :: v_dual_add_f32 v42, v98, v51
	v_dual_add_f32 v13, v97, v91 :: v_dual_add_f32 v28, v44, v28
	v_fma_f32 v44, 0xbf3f9e67, v2, -v101
	v_fmac_f32_e32 v57, 0x3f62ad3f, v10
	v_add_f32_e32 v10, v24, v54
	v_add_f32_e32 v34, v61, v18
	v_dual_add_f32 v18, v48, v73 :: v_dual_add_f32 v3, v3, v4
	v_fma_f32 v2, 0xbeb58ec6, v2, -v87
	v_fma_f32 v118, 0x3f116cb1, v6, -v29
	v_fma_f32 v103, 0x3f62ad3f, v5, -v63
	v_fma_f32 v75, 0x3df6dbef, v0, -v75
	v_fma_f32 v76, 0xbeb58ec6, v0, -v76
	v_fma_f32 v82, 0x3f116cb1, v0, -v82
	v_add_f32_e32 v17, v80, v17
	v_dual_add_f32 v69, v85, v69 :: v_dual_add_f32 v12, v103, v92
	v_fma_f32 v50, 0x3f116cb1, v1, -v50
	v_dual_fmac_f32 v29, 0x3f116cb1, v6 :: v_dual_add_f32 v2, v2, v3
	v_add_f32_e32 v26, v26, v18
	v_add_f32_e32 v18, v44, v28
	v_fma_f32 v28, 0x3df6dbef, v1, -v115
	v_fma_f32 v1, 0xbf3f9e67, v1, -v94
	v_fmac_f32_e32 v53, 0xbeb58ec6, v9
	v_fma_f32 v128, 0xbf3f9e67, v5, -v19
	v_dual_add_f32 v40, v139, v86 :: v_dual_add_f32 v89, v118, v52
	v_add_f32_e32 v38, v135, v77
	v_add_f32_e32 v52, v127, v88
	v_dual_add_f32 v37, v75, v17 :: v_dual_add_f32 v18, v28, v18
	v_dual_add_f32 v17, v76, v69 :: v_dual_fmac_f32 v72, 0xbf788fa5, v8
	v_dual_add_f32 v27, v82, v71 :: v_dual_add_f32 v24, v24, v57
	v_add_f32_e32 v48, v84, v95
	v_add_f32_e32 v2, v1, v2
	;; [unrolled: 1-line block ×4, first 2 shown]
	s_delay_alu instid0(VALU_DEP_4)
	v_dual_add_f32 v51, v128, v89 :: v_dual_add_f32 v48, v50, v48
	v_fma_f32 v46, 0xbf3f9e67, v0, -v46
	v_add_f32_e32 v10, v55, v24
	v_fmac_f32_e32 v67, 0x3df6dbef, v8
	v_dual_fmac_f32 v45, 0x3f62ad3f, v7 :: v_dual_add_f32 v8, v72, v9
	v_dual_add_f32 v47, v47, v49 :: v_dual_fmac_f32 v70, 0xbf3f9e67, v7
	s_delay_alu instid0(VALU_DEP_3) | instskip(SKIP_2) | instid1(VALU_DEP_4)
	v_add_f32_e32 v4, v67, v10
	v_fmac_f32_e32 v64, 0xbeb58ec6, v7
	v_fmac_f32_e32 v65, 0x3df6dbef, v6
	v_dual_add_f32 v47, v45, v47 :: v_dual_fmac_f32 v60, 0xbf3f9e67, v6
	v_add_f32_e32 v45, v46, v48
	v_add_f32_e32 v7, v70, v8
	;; [unrolled: 1-line block ×3, first 2 shown]
	v_fmac_f32_e32 v19, 0xbf3f9e67, v5
	v_fma_f32 v28, 0x3f62ad3f, v0, -v116
	s_delay_alu instid0(VALU_DEP_4)
	v_dual_fmac_f32 v63, 0x3f62ad3f, v5 :: v_dual_add_f32 v4, v65, v7
	v_add_f32_e32 v29, v29, v47
	v_fma_f32 v6, 0xbf788fa5, v0, -v96
	v_add_f32_e32 v7, v60, v3
	v_add_f32_e32 v14, v104, v93
	;; [unrolled: 1-line block ×3, first 2 shown]
	v_dual_add_f32 v44, v19, v29 :: v_dual_add_f32 v1, v28, v18
	s_delay_alu instid0(VALU_DEP_4)
	v_dual_add_f32 v3, v6, v2 :: v_dual_add_f32 v2, v59, v7
	ds_store_b64 v31, v[34:35]
	ds_store_2addr_b64 v33, v[14:15], v[12:13] offset0:4 offset1:8
	ds_store_2addr_b64 v33, v[51:52], v[42:43] offset0:12 offset1:16
	;; [unrolled: 1-line block ×6, first 2 shown]
.LBB0_8:
	s_wait_alu 0xfffe
	s_or_b32 exec_lo, exec_lo, s3
	global_wb scope:SCOPE_SE
	s_wait_dscnt 0x0
	s_barrier_signal -1
	s_barrier_wait -1
	global_inv scope:SCOPE_SE
	ds_load_b64 v[2:3], v31
	v_sub_nc_u32_e32 v4, v30, v32
	v_cmp_ne_u16_e64 s2, 0, v21
                                        ; implicit-def: $vgpr0
                                        ; implicit-def: $vgpr5
                                        ; implicit-def: $vgpr6
	s_delay_alu instid0(VALU_DEP_1)
	s_and_saveexec_b32 s3, s2
	s_wait_alu 0xfffe
	s_xor_b32 s2, exec_lo, s3
	s_cbranch_execz .LBB0_10
; %bb.9:
	v_and_b32_e32 v0, 0xffff, v21
	s_delay_alu instid0(VALU_DEP_1)
	v_lshlrev_b32_e32 v0, 3, v0
	global_load_b64 v[7:8], v0, s[6:7] offset:384
	ds_load_b64 v[0:1], v4 offset:416
	s_wait_dscnt 0x0
	v_dual_sub_f32 v5, v2, v0 :: v_dual_add_f32 v6, v1, v3
	v_dual_sub_f32 v1, v3, v1 :: v_dual_add_f32 v0, v0, v2
	s_delay_alu instid0(VALU_DEP_2) | instskip(SKIP_1) | instid1(VALU_DEP_1)
	v_dual_mul_f32 v3, 0.5, v5 :: v_dual_mul_f32 v2, 0.5, v6
	s_wait_loadcnt 0x0
	v_dual_mul_f32 v1, 0.5, v1 :: v_dual_mul_f32 v6, v8, v3
	s_delay_alu instid0(VALU_DEP_1) | instskip(SKIP_1) | instid1(VALU_DEP_3)
	v_fma_f32 v9, v2, v8, v1
	v_fma_f32 v1, v2, v8, -v1
	v_fma_f32 v5, 0.5, v0, v6
	v_fma_f32 v0, v0, 0.5, -v6
	s_delay_alu instid0(VALU_DEP_4) | instskip(NEXT) | instid1(VALU_DEP_4)
	v_fma_f32 v6, -v7, v3, v9
	v_fma_f32 v1, -v7, v3, v1
	s_delay_alu instid0(VALU_DEP_4) | instskip(NEXT) | instid1(VALU_DEP_4)
	v_fmac_f32_e32 v5, v7, v2
	v_fma_f32 v0, -v7, v2, v0
                                        ; implicit-def: $vgpr2_vgpr3
.LBB0_10:
	s_wait_alu 0xfffe
	s_and_not1_saveexec_b32 s2, s2
	s_cbranch_execz .LBB0_12
; %bb.11:
	ds_load_b32 v1, v30 offset:212
	s_wait_dscnt 0x1
	v_dual_add_f32 v5, v2, v3 :: v_dual_mov_b32 v6, 0
	v_sub_f32_e32 v0, v2, v3
	s_wait_dscnt 0x0
	v_xor_b32_e32 v2, 0x80000000, v1
	v_mov_b32_e32 v1, 0
	ds_store_b32 v30, v2 offset:212
.LBB0_12:
	s_wait_alu 0xfffe
	s_or_b32 exec_lo, exec_lo, s2
	v_mov_b32_e32 v21, 0
	s_add_nc_u64 s[2:3], s[6:7], 0x180
	s_wait_dscnt 0x0
	s_delay_alu instid0(VALU_DEP_1) | instskip(SKIP_1) | instid1(VALU_DEP_1)
	v_lshlrev_b64_e32 v[2:3], 3, v[20:21]
	s_wait_alu 0xfffe
	v_add_co_u32 v2, s2, s2, v2
	s_wait_alu 0xf1ff
	s_delay_alu instid0(VALU_DEP_2)
	v_add_co_ci_u32_e64 v3, s2, s3, v3, s2
	global_load_b64 v[2:3], v[2:3], off offset:104
	ds_store_2addr_b32 v31, v5, v6 offset1:1
	ds_store_b64 v4, v[0:1] offset:416
	ds_load_b64 v[0:1], v31 offset:104
	ds_load_b64 v[5:6], v4 offset:312
	s_wait_dscnt 0x0
	v_dual_add_f32 v8, v1, v6 :: v_dual_sub_f32 v7, v0, v5
	v_dual_sub_f32 v1, v1, v6 :: v_dual_add_f32 v0, v0, v5
	s_delay_alu instid0(VALU_DEP_2) | instskip(NEXT) | instid1(VALU_DEP_2)
	v_dual_mul_f32 v6, 0.5, v7 :: v_dual_mul_f32 v7, 0.5, v8
	v_mul_f32_e32 v1, 0.5, v1
	s_wait_loadcnt 0x0
	s_delay_alu instid0(VALU_DEP_2) | instskip(NEXT) | instid1(VALU_DEP_2)
	v_mul_f32_e32 v5, v3, v6
	v_fma_f32 v8, v7, v3, v1
	v_fma_f32 v1, v7, v3, -v1
	s_delay_alu instid0(VALU_DEP_3) | instskip(SKIP_1) | instid1(VALU_DEP_4)
	v_fma_f32 v3, 0.5, v0, v5
	v_fma_f32 v0, v0, 0.5, -v5
	v_fma_f32 v5, -v2, v6, v8
	s_delay_alu instid0(VALU_DEP_4) | instskip(NEXT) | instid1(VALU_DEP_4)
	v_fma_f32 v1, -v2, v6, v1
	v_fmac_f32_e32 v3, v2, v7
	s_delay_alu instid0(VALU_DEP_4)
	v_fma_f32 v0, -v2, v7, v0
	ds_store_2addr_b32 v31, v3, v5 offset0:26 offset1:27
	ds_store_b64 v4, v[0:1] offset:312
	global_wb scope:SCOPE_SE
	s_wait_dscnt 0x0
	s_barrier_signal -1
	s_barrier_wait -1
	global_inv scope:SCOPE_SE
	s_and_saveexec_b32 s2, vcc_lo
	s_cbranch_execz .LBB0_15
; %bb.13:
	v_mad_co_u64_u32 v[0:1], null, s4, v22, 0
	s_load_b64 s[0:1], s[0:1], 0x58
	v_add_nc_u32_e32 v20, 13, v23
	v_mov_b32_e32 v24, v21
	s_delay_alu instid0(VALU_DEP_2) | instskip(NEXT) | instid1(VALU_DEP_4)
	v_lshlrev_b64_e32 v[11:12], 3, v[20:21]
	v_mad_co_u64_u32 v[1:2], null, s5, v22, v[1:2]
	v_lshl_add_u32 v2, v23, 3, v30
	v_add_nc_u32_e32 v20, 26, v23
	v_lshlrev_b64_e32 v[13:14], 3, v[23:24]
	ds_load_2addr_b64 v[3:6], v2 offset1:13
	v_lshlrev_b64_e32 v[0:1], 3, v[0:1]
	v_lshlrev_b64_e32 v[15:16], 3, v[20:21]
	v_add_nc_u32_e32 v20, 39, v23
	ds_load_2addr_b64 v[7:10], v2 offset0:26 offset1:39
	s_wait_kmcnt 0x0
	v_add_co_u32 v0, vcc_lo, s0, v0
	v_add_co_ci_u32_e32 v1, vcc_lo, s1, v1, vcc_lo
	v_lshlrev_b64_e32 v[17:18], 3, v[20:21]
	s_delay_alu instid0(VALU_DEP_3) | instskip(SKIP_1) | instid1(VALU_DEP_3)
	v_add_co_u32 v13, vcc_lo, v0, v13
	s_wait_alu 0xfffd
	v_add_co_ci_u32_e32 v14, vcc_lo, v1, v14, vcc_lo
	v_add_co_u32 v11, vcc_lo, v0, v11
	s_wait_alu 0xfffd
	v_add_co_ci_u32_e32 v12, vcc_lo, v1, v12, vcc_lo
	;; [unrolled: 3-line block ×4, first 2 shown]
	v_cmp_eq_u32_e32 vcc_lo, 12, v23
	s_wait_dscnt 0x1
	s_clause 0x1
	global_store_b64 v[13:14], v[3:4], off
	global_store_b64 v[11:12], v[5:6], off
	s_wait_dscnt 0x0
	s_clause 0x1
	global_store_b64 v[15:16], v[7:8], off
	global_store_b64 v[17:18], v[9:10], off
	s_and_b32 exec_lo, exec_lo, vcc_lo
	s_cbranch_execz .LBB0_15
; %bb.14:
	ds_load_b64 v[2:3], v2 offset:320
	s_wait_dscnt 0x0
	global_store_b64 v[0:1], v[2:3], off offset:416
.LBB0_15:
	s_nop 0
	s_sendmsg sendmsg(MSG_DEALLOC_VGPRS)
	s_endpgm
	.section	.rodata,"a",@progbits
	.p2align	6, 0x0
	.amdhsa_kernel fft_rtc_fwd_len52_factors_4_13_wgs_117_tpt_13_halfLds_dim1_sp_op_CI_CI_unitstride_sbrr_R2C_dirReg
		.amdhsa_group_segment_fixed_size 0
		.amdhsa_private_segment_fixed_size 0
		.amdhsa_kernarg_size 96
		.amdhsa_user_sgpr_count 2
		.amdhsa_user_sgpr_dispatch_ptr 0
		.amdhsa_user_sgpr_queue_ptr 0
		.amdhsa_user_sgpr_kernarg_segment_ptr 1
		.amdhsa_user_sgpr_dispatch_id 0
		.amdhsa_user_sgpr_private_segment_size 0
		.amdhsa_wavefront_size32 1
		.amdhsa_uses_dynamic_stack 0
		.amdhsa_enable_private_segment 0
		.amdhsa_system_sgpr_workgroup_id_x 1
		.amdhsa_system_sgpr_workgroup_id_y 0
		.amdhsa_system_sgpr_workgroup_id_z 0
		.amdhsa_system_sgpr_workgroup_info 0
		.amdhsa_system_vgpr_workitem_id 0
		.amdhsa_next_free_vgpr 144
		.amdhsa_next_free_sgpr 10
		.amdhsa_reserve_vcc 1
		.amdhsa_float_round_mode_32 0
		.amdhsa_float_round_mode_16_64 0
		.amdhsa_float_denorm_mode_32 3
		.amdhsa_float_denorm_mode_16_64 3
		.amdhsa_fp16_overflow 0
		.amdhsa_workgroup_processor_mode 1
		.amdhsa_memory_ordered 1
		.amdhsa_forward_progress 0
		.amdhsa_round_robin_scheduling 0
		.amdhsa_exception_fp_ieee_invalid_op 0
		.amdhsa_exception_fp_denorm_src 0
		.amdhsa_exception_fp_ieee_div_zero 0
		.amdhsa_exception_fp_ieee_overflow 0
		.amdhsa_exception_fp_ieee_underflow 0
		.amdhsa_exception_fp_ieee_inexact 0
		.amdhsa_exception_int_div_zero 0
	.end_amdhsa_kernel
	.text
.Lfunc_end0:
	.size	fft_rtc_fwd_len52_factors_4_13_wgs_117_tpt_13_halfLds_dim1_sp_op_CI_CI_unitstride_sbrr_R2C_dirReg, .Lfunc_end0-fft_rtc_fwd_len52_factors_4_13_wgs_117_tpt_13_halfLds_dim1_sp_op_CI_CI_unitstride_sbrr_R2C_dirReg
                                        ; -- End function
	.section	.AMDGPU.csdata,"",@progbits
; Kernel info:
; codeLenInByte = 4912
; NumSgprs: 12
; NumVgprs: 144
; ScratchSize: 0
; MemoryBound: 0
; FloatMode: 240
; IeeeMode: 1
; LDSByteSize: 0 bytes/workgroup (compile time only)
; SGPRBlocks: 1
; VGPRBlocks: 17
; NumSGPRsForWavesPerEU: 12
; NumVGPRsForWavesPerEU: 144
; Occupancy: 10
; WaveLimiterHint : 1
; COMPUTE_PGM_RSRC2:SCRATCH_EN: 0
; COMPUTE_PGM_RSRC2:USER_SGPR: 2
; COMPUTE_PGM_RSRC2:TRAP_HANDLER: 0
; COMPUTE_PGM_RSRC2:TGID_X_EN: 1
; COMPUTE_PGM_RSRC2:TGID_Y_EN: 0
; COMPUTE_PGM_RSRC2:TGID_Z_EN: 0
; COMPUTE_PGM_RSRC2:TIDIG_COMP_CNT: 0
	.text
	.p2alignl 7, 3214868480
	.fill 96, 4, 3214868480
	.type	__hip_cuid_746128b719ac9263,@object ; @__hip_cuid_746128b719ac9263
	.section	.bss,"aw",@nobits
	.globl	__hip_cuid_746128b719ac9263
__hip_cuid_746128b719ac9263:
	.byte	0                               ; 0x0
	.size	__hip_cuid_746128b719ac9263, 1

	.ident	"AMD clang version 19.0.0git (https://github.com/RadeonOpenCompute/llvm-project roc-6.4.0 25133 c7fe45cf4b819c5991fe208aaa96edf142730f1d)"
	.section	".note.GNU-stack","",@progbits
	.addrsig
	.addrsig_sym __hip_cuid_746128b719ac9263
	.amdgpu_metadata
---
amdhsa.kernels:
  - .args:
      - .actual_access:  read_only
        .address_space:  global
        .offset:         0
        .size:           8
        .value_kind:     global_buffer
      - .actual_access:  read_only
        .address_space:  global
        .offset:         8
        .size:           8
        .value_kind:     global_buffer
      - .actual_access:  read_only
        .address_space:  global
        .offset:         16
        .size:           8
        .value_kind:     global_buffer
      - .actual_access:  read_only
        .address_space:  global
        .offset:         24
        .size:           8
        .value_kind:     global_buffer
      - .offset:         32
        .size:           8
        .value_kind:     by_value
      - .actual_access:  read_only
        .address_space:  global
        .offset:         40
        .size:           8
        .value_kind:     global_buffer
      - .actual_access:  read_only
        .address_space:  global
        .offset:         48
        .size:           8
        .value_kind:     global_buffer
      - .offset:         56
        .size:           4
        .value_kind:     by_value
      - .actual_access:  read_only
        .address_space:  global
        .offset:         64
        .size:           8
        .value_kind:     global_buffer
      - .actual_access:  read_only
        .address_space:  global
        .offset:         72
        .size:           8
        .value_kind:     global_buffer
      - .actual_access:  read_only
        .address_space:  global
        .offset:         80
        .size:           8
        .value_kind:     global_buffer
      - .actual_access:  write_only
        .address_space:  global
        .offset:         88
        .size:           8
        .value_kind:     global_buffer
    .group_segment_fixed_size: 0
    .kernarg_segment_align: 8
    .kernarg_segment_size: 96
    .language:       OpenCL C
    .language_version:
      - 2
      - 0
    .max_flat_workgroup_size: 117
    .name:           fft_rtc_fwd_len52_factors_4_13_wgs_117_tpt_13_halfLds_dim1_sp_op_CI_CI_unitstride_sbrr_R2C_dirReg
    .private_segment_fixed_size: 0
    .sgpr_count:     12
    .sgpr_spill_count: 0
    .symbol:         fft_rtc_fwd_len52_factors_4_13_wgs_117_tpt_13_halfLds_dim1_sp_op_CI_CI_unitstride_sbrr_R2C_dirReg.kd
    .uniform_work_group_size: 1
    .uses_dynamic_stack: false
    .vgpr_count:     144
    .vgpr_spill_count: 0
    .wavefront_size: 32
    .workgroup_processor_mode: 1
amdhsa.target:   amdgcn-amd-amdhsa--gfx1201
amdhsa.version:
  - 1
  - 2
...

	.end_amdgpu_metadata
